;; amdgpu-corpus repo=pytorch/pytorch kind=compiled arch=gfx950 opt=O3
	.amdgcn_target "amdgcn-amd-amdhsa--gfx950"
	.amdhsa_code_object_version 6
	.section	.text._ZN2at4cuda12_GLOBAL__N_111spin_kernelEl,"axG",@progbits,_ZN2at4cuda12_GLOBAL__N_111spin_kernelEl,comdat
	.globl	_ZN2at4cuda12_GLOBAL__N_111spin_kernelEl ; -- Begin function _ZN2at4cuda12_GLOBAL__N_111spin_kernelEl
	.p2align	8
	.type	_ZN2at4cuda12_GLOBAL__N_111spin_kernelEl,@function
_ZN2at4cuda12_GLOBAL__N_111spin_kernelEl: ; @_ZN2at4cuda12_GLOBAL__N_111spin_kernelEl
; %bb.0:
	s_load_dwordx2 s[2:3], s[0:1], 0x0
	s_waitcnt lgkmcnt(0)
	v_cmp_lt_i64_e64 s[4:5], s[2:3], 1
	s_memtime s[0:1]
	s_and_b64 vcc, exec, s[4:5]
	s_cbranch_vccnz .LBB0_3
; %bb.1:
	v_mov_b64_e32 v[0:1], s[2:3]
.LBB0_2:                                ; =>This Inner Loop Header: Depth=1
	s_memtime s[2:3]
	s_waitcnt lgkmcnt(0)
	s_sub_u32 s2, s2, s0
	s_subb_u32 s3, s3, s1
	v_cmp_lt_i64_e32 vcc, s[2:3], v[0:1]
	s_cbranch_vccnz .LBB0_2
.LBB0_3:
	s_endpgm
	.section	.rodata,"a",@progbits
	.p2align	6, 0x0
	.amdhsa_kernel _ZN2at4cuda12_GLOBAL__N_111spin_kernelEl
		.amdhsa_group_segment_fixed_size 0
		.amdhsa_private_segment_fixed_size 0
		.amdhsa_kernarg_size 8
		.amdhsa_user_sgpr_count 2
		.amdhsa_user_sgpr_dispatch_ptr 0
		.amdhsa_user_sgpr_queue_ptr 0
		.amdhsa_user_sgpr_kernarg_segment_ptr 1
		.amdhsa_user_sgpr_dispatch_id 0
		.amdhsa_user_sgpr_kernarg_preload_length 0
		.amdhsa_user_sgpr_kernarg_preload_offset 0
		.amdhsa_user_sgpr_private_segment_size 0
		.amdhsa_uses_dynamic_stack 0
		.amdhsa_enable_private_segment 0
		.amdhsa_system_sgpr_workgroup_id_x 1
		.amdhsa_system_sgpr_workgroup_id_y 0
		.amdhsa_system_sgpr_workgroup_id_z 0
		.amdhsa_system_sgpr_workgroup_info 0
		.amdhsa_system_vgpr_workitem_id 0
		.amdhsa_next_free_vgpr 2
		.amdhsa_next_free_sgpr 6
		.amdhsa_accum_offset 4
		.amdhsa_reserve_vcc 1
		.amdhsa_float_round_mode_32 0
		.amdhsa_float_round_mode_16_64 0
		.amdhsa_float_denorm_mode_32 3
		.amdhsa_float_denorm_mode_16_64 3
		.amdhsa_dx10_clamp 1
		.amdhsa_ieee_mode 1
		.amdhsa_fp16_overflow 0
		.amdhsa_tg_split 0
		.amdhsa_exception_fp_ieee_invalid_op 0
		.amdhsa_exception_fp_denorm_src 0
		.amdhsa_exception_fp_ieee_div_zero 0
		.amdhsa_exception_fp_ieee_overflow 0
		.amdhsa_exception_fp_ieee_underflow 0
		.amdhsa_exception_fp_ieee_inexact 0
		.amdhsa_exception_int_div_zero 0
	.end_amdhsa_kernel
	.section	.text._ZN2at4cuda12_GLOBAL__N_111spin_kernelEl,"axG",@progbits,_ZN2at4cuda12_GLOBAL__N_111spin_kernelEl,comdat
.Lfunc_end0:
	.size	_ZN2at4cuda12_GLOBAL__N_111spin_kernelEl, .Lfunc_end0-_ZN2at4cuda12_GLOBAL__N_111spin_kernelEl
                                        ; -- End function
	.set _ZN2at4cuda12_GLOBAL__N_111spin_kernelEl.num_vgpr, 2
	.set _ZN2at4cuda12_GLOBAL__N_111spin_kernelEl.num_agpr, 0
	.set _ZN2at4cuda12_GLOBAL__N_111spin_kernelEl.numbered_sgpr, 6
	.set _ZN2at4cuda12_GLOBAL__N_111spin_kernelEl.num_named_barrier, 0
	.set _ZN2at4cuda12_GLOBAL__N_111spin_kernelEl.private_seg_size, 0
	.set _ZN2at4cuda12_GLOBAL__N_111spin_kernelEl.uses_vcc, 1
	.set _ZN2at4cuda12_GLOBAL__N_111spin_kernelEl.uses_flat_scratch, 0
	.set _ZN2at4cuda12_GLOBAL__N_111spin_kernelEl.has_dyn_sized_stack, 0
	.set _ZN2at4cuda12_GLOBAL__N_111spin_kernelEl.has_recursion, 0
	.set _ZN2at4cuda12_GLOBAL__N_111spin_kernelEl.has_indirect_call, 0
	.section	.AMDGPU.csdata,"",@progbits
; Kernel info:
; codeLenInByte = 72
; TotalNumSgprs: 12
; NumVgprs: 2
; NumAgprs: 0
; TotalNumVgprs: 2
; ScratchSize: 0
; MemoryBound: 0
; FloatMode: 240
; IeeeMode: 1
; LDSByteSize: 0 bytes/workgroup (compile time only)
; SGPRBlocks: 1
; VGPRBlocks: 0
; NumSGPRsForWavesPerEU: 12
; NumVGPRsForWavesPerEU: 2
; AccumOffset: 4
; Occupancy: 8
; WaveLimiterHint : 0
; COMPUTE_PGM_RSRC2:SCRATCH_EN: 0
; COMPUTE_PGM_RSRC2:USER_SGPR: 2
; COMPUTE_PGM_RSRC2:TRAP_HANDLER: 0
; COMPUTE_PGM_RSRC2:TGID_X_EN: 1
; COMPUTE_PGM_RSRC2:TGID_Y_EN: 0
; COMPUTE_PGM_RSRC2:TGID_Z_EN: 0
; COMPUTE_PGM_RSRC2:TIDIG_COMP_CNT: 0
; COMPUTE_PGM_RSRC3_GFX90A:ACCUM_OFFSET: 0
; COMPUTE_PGM_RSRC3_GFX90A:TG_SPLIT: 0
	.text
	.protected	_ZN2at4cuda19flush_icache_kernelEv ; -- Begin function _ZN2at4cuda19flush_icache_kernelEv
	.globl	_ZN2at4cuda19flush_icache_kernelEv
	.p2align	8
	.type	_ZN2at4cuda19flush_icache_kernelEv,@function
_ZN2at4cuda19flush_icache_kernelEv:     ; @_ZN2at4cuda19flush_icache_kernelEv
; %bb.0:
	;;#ASMSTART
	s_icache_inv 
	s_nop 0 
	s_nop 0 
	;; [unrolled: 1-line block ×16, first 2 shown]
	
	;;#ASMEND
	s_endpgm
	.section	.rodata,"a",@progbits
	.p2align	6, 0x0
	.amdhsa_kernel _ZN2at4cuda19flush_icache_kernelEv
		.amdhsa_group_segment_fixed_size 0
		.amdhsa_private_segment_fixed_size 0
		.amdhsa_kernarg_size 0
		.amdhsa_user_sgpr_count 0
		.amdhsa_user_sgpr_dispatch_ptr 0
		.amdhsa_user_sgpr_queue_ptr 0
		.amdhsa_user_sgpr_kernarg_segment_ptr 0
		.amdhsa_user_sgpr_dispatch_id 0
		.amdhsa_user_sgpr_kernarg_preload_length 0
		.amdhsa_user_sgpr_kernarg_preload_offset 0
		.amdhsa_user_sgpr_private_segment_size 0
		.amdhsa_uses_dynamic_stack 0
		.amdhsa_enable_private_segment 0
		.amdhsa_system_sgpr_workgroup_id_x 1
		.amdhsa_system_sgpr_workgroup_id_y 0
		.amdhsa_system_sgpr_workgroup_id_z 0
		.amdhsa_system_sgpr_workgroup_info 0
		.amdhsa_system_vgpr_workitem_id 0
		.amdhsa_next_free_vgpr 1
		.amdhsa_next_free_sgpr 0
		.amdhsa_accum_offset 4
		.amdhsa_reserve_vcc 0
		.amdhsa_float_round_mode_32 0
		.amdhsa_float_round_mode_16_64 0
		.amdhsa_float_denorm_mode_32 3
		.amdhsa_float_denorm_mode_16_64 3
		.amdhsa_dx10_clamp 1
		.amdhsa_ieee_mode 1
		.amdhsa_fp16_overflow 0
		.amdhsa_tg_split 0
		.amdhsa_exception_fp_ieee_invalid_op 0
		.amdhsa_exception_fp_denorm_src 0
		.amdhsa_exception_fp_ieee_div_zero 0
		.amdhsa_exception_fp_ieee_overflow 0
		.amdhsa_exception_fp_ieee_underflow 0
		.amdhsa_exception_fp_ieee_inexact 0
		.amdhsa_exception_int_div_zero 0
	.end_amdhsa_kernel
	.text
.Lfunc_end1:
	.size	_ZN2at4cuda19flush_icache_kernelEv, .Lfunc_end1-_ZN2at4cuda19flush_icache_kernelEv
                                        ; -- End function
	.set _ZN2at4cuda19flush_icache_kernelEv.num_vgpr, 0
	.set _ZN2at4cuda19flush_icache_kernelEv.num_agpr, 0
	.set _ZN2at4cuda19flush_icache_kernelEv.numbered_sgpr, 0
	.set _ZN2at4cuda19flush_icache_kernelEv.num_named_barrier, 0
	.set _ZN2at4cuda19flush_icache_kernelEv.private_seg_size, 0
	.set _ZN2at4cuda19flush_icache_kernelEv.uses_vcc, 0
	.set _ZN2at4cuda19flush_icache_kernelEv.uses_flat_scratch, 0
	.set _ZN2at4cuda19flush_icache_kernelEv.has_dyn_sized_stack, 0
	.set _ZN2at4cuda19flush_icache_kernelEv.has_recursion, 0
	.set _ZN2at4cuda19flush_icache_kernelEv.has_indirect_call, 0
	.section	.AMDGPU.csdata,"",@progbits
; Kernel info:
; codeLenInByte = 276
; TotalNumSgprs: 6
; NumVgprs: 0
; NumAgprs: 0
; TotalNumVgprs: 0
; ScratchSize: 0
; MemoryBound: 0
; FloatMode: 240
; IeeeMode: 1
; LDSByteSize: 0 bytes/workgroup (compile time only)
; SGPRBlocks: 0
; VGPRBlocks: 0
; NumSGPRsForWavesPerEU: 6
; NumVGPRsForWavesPerEU: 1
; AccumOffset: 4
; Occupancy: 8
; WaveLimiterHint : 0
; COMPUTE_PGM_RSRC2:SCRATCH_EN: 0
; COMPUTE_PGM_RSRC2:USER_SGPR: 0
; COMPUTE_PGM_RSRC2:TRAP_HANDLER: 0
; COMPUTE_PGM_RSRC2:TGID_X_EN: 1
; COMPUTE_PGM_RSRC2:TGID_Y_EN: 0
; COMPUTE_PGM_RSRC2:TGID_Z_EN: 0
; COMPUTE_PGM_RSRC2:TIDIG_COMP_CNT: 0
; COMPUTE_PGM_RSRC3_GFX90A:ACCUM_OFFSET: 0
; COMPUTE_PGM_RSRC3_GFX90A:TG_SPLIT: 0
	.text
	.p2alignl 6, 3212836864
	.fill 256, 4, 3212836864
	.section	.AMDGPU.gpr_maximums,"",@progbits
	.set amdgpu.max_num_vgpr, 0
	.set amdgpu.max_num_agpr, 0
	.set amdgpu.max_num_sgpr, 0
	.text
	.type	__hip_cuid_806a7c3702c724f4,@object ; @__hip_cuid_806a7c3702c724f4
	.section	.bss,"aw",@nobits
	.globl	__hip_cuid_806a7c3702c724f4
__hip_cuid_806a7c3702c724f4:
	.byte	0                               ; 0x0
	.size	__hip_cuid_806a7c3702c724f4, 1

	.ident	"AMD clang version 22.0.0git (https://github.com/RadeonOpenCompute/llvm-project roc-7.2.4 26084 f58b06dce1f9c15707c5f808fd002e18c2accf7e)"
	.section	".note.GNU-stack","",@progbits
	.addrsig
	.addrsig_sym __hip_cuid_806a7c3702c724f4
	.amdgpu_metadata
---
amdhsa.kernels:
  - .agpr_count:     0
    .args:
      - .offset:         0
        .size:           8
        .value_kind:     by_value
    .group_segment_fixed_size: 0
    .kernarg_segment_align: 8
    .kernarg_segment_size: 8
    .language:       OpenCL C
    .language_version:
      - 2
      - 0
    .max_flat_workgroup_size: 1024
    .name:           _ZN2at4cuda12_GLOBAL__N_111spin_kernelEl
    .private_segment_fixed_size: 0
    .sgpr_count:     12
    .sgpr_spill_count: 0
    .symbol:         _ZN2at4cuda12_GLOBAL__N_111spin_kernelEl.kd
    .uniform_work_group_size: 1
    .uses_dynamic_stack: false
    .vgpr_count:     2
    .vgpr_spill_count: 0
    .wavefront_size: 64
  - .agpr_count:     0
    .args:           []
    .group_segment_fixed_size: 0
    .kernarg_segment_align: 4
    .kernarg_segment_size: 0
    .language:       OpenCL C
    .language_version:
      - 2
      - 0
    .max_flat_workgroup_size: 1024
    .name:           _ZN2at4cuda19flush_icache_kernelEv
    .private_segment_fixed_size: 0
    .sgpr_count:     6
    .sgpr_spill_count: 0
    .symbol:         _ZN2at4cuda19flush_icache_kernelEv.kd
    .uniform_work_group_size: 1
    .uses_dynamic_stack: false
    .vgpr_count:     0
    .vgpr_spill_count: 0
    .wavefront_size: 64
amdhsa.target:   amdgcn-amd-amdhsa--gfx950
amdhsa.version:
  - 1
  - 2
...

	.end_amdgpu_metadata
